;; amdgpu-corpus repo=ROCm/rocFFT kind=compiled arch=gfx950 opt=O3
	.text
	.amdgcn_target "amdgcn-amd-amdhsa--gfx950"
	.amdhsa_code_object_version 6
	.protected	fft_rtc_back_len126_factors_6_7_3_wgs_252_tpt_42_half_op_CI_CI_unitstride_sbrr_dirReg ; -- Begin function fft_rtc_back_len126_factors_6_7_3_wgs_252_tpt_42_half_op_CI_CI_unitstride_sbrr_dirReg
	.globl	fft_rtc_back_len126_factors_6_7_3_wgs_252_tpt_42_half_op_CI_CI_unitstride_sbrr_dirReg
	.p2align	8
	.type	fft_rtc_back_len126_factors_6_7_3_wgs_252_tpt_42_half_op_CI_CI_unitstride_sbrr_dirReg,@function
fft_rtc_back_len126_factors_6_7_3_wgs_252_tpt_42_half_op_CI_CI_unitstride_sbrr_dirReg: ; @fft_rtc_back_len126_factors_6_7_3_wgs_252_tpt_42_half_op_CI_CI_unitstride_sbrr_dirReg
; %bb.0:
	s_load_dwordx4 s[4:7], s[0:1], 0x58
	s_load_dwordx4 s[8:11], s[0:1], 0x0
	;; [unrolled: 1-line block ×3, first 2 shown]
	v_mul_u32_u24_e32 v1, 0x619, v0
	v_lshrrev_b32_e32 v2, 16, v1
	v_mad_u64_u32 v[8:9], s[2:3], s2, 6, v[2:3]
	v_mov_b32_e32 v6, 0
	v_mov_b32_e32 v9, v6
	s_waitcnt lgkmcnt(0)
	v_cmp_lt_u64_e64 s[2:3], s[10:11], 2
	v_mov_b64_e32 v[10:11], 0
	s_and_b64 vcc, exec, s[2:3]
	v_mov_b64_e32 v[2:3], v[10:11]
	v_mov_b64_e32 v[4:5], v[8:9]
	s_cbranch_vccnz .LBB0_8
; %bb.1:
	s_load_dwordx2 s[2:3], s[0:1], 0x10
	s_add_u32 s16, s14, 8
	s_addc_u32 s17, s15, 0
	s_add_u32 s18, s12, 8
	s_addc_u32 s19, s13, 0
	s_waitcnt lgkmcnt(0)
	s_add_u32 s20, s2, 8
	v_mov_b64_e32 v[10:11], 0
	s_addc_u32 s21, s3, 0
	s_mov_b64 s[22:23], 1
	v_mov_b64_e32 v[2:3], v[10:11]
	v_mov_b64_e32 v[12:13], v[8:9]
.LBB0_2:                                ; =>This Inner Loop Header: Depth=1
	s_load_dwordx2 s[24:25], s[20:21], 0x0
                                        ; implicit-def: $vgpr4_vgpr5
	s_waitcnt lgkmcnt(0)
	v_or_b32_e32 v7, s25, v13
	v_cmp_ne_u64_e32 vcc, 0, v[6:7]
	s_and_saveexec_b64 s[2:3], vcc
	s_xor_b64 s[26:27], exec, s[2:3]
	s_cbranch_execz .LBB0_4
; %bb.3:                                ;   in Loop: Header=BB0_2 Depth=1
	v_cvt_f32_u32_e32 v1, s24
	v_cvt_f32_u32_e32 v4, s25
	s_sub_u32 s2, 0, s24
	s_subb_u32 s3, 0, s25
	v_fmac_f32_e32 v1, 0x4f800000, v4
	v_rcp_f32_e32 v1, v1
	s_nop 0
	v_mul_f32_e32 v1, 0x5f7ffffc, v1
	v_mul_f32_e32 v4, 0x2f800000, v1
	v_trunc_f32_e32 v4, v4
	v_fmac_f32_e32 v1, 0xcf800000, v4
	v_cvt_u32_f32_e32 v7, v4
	v_cvt_u32_f32_e32 v1, v1
	v_mul_lo_u32 v4, s2, v7
	v_mul_hi_u32 v9, s2, v1
	v_mul_lo_u32 v5, s3, v1
	v_add_u32_e32 v9, v9, v4
	v_mul_lo_u32 v16, s2, v1
	v_add_u32_e32 v9, v9, v5
	v_mul_hi_u32 v4, v1, v16
	v_mul_hi_u32 v15, v1, v9
	v_mul_lo_u32 v14, v1, v9
	v_mov_b32_e32 v5, v6
	v_lshl_add_u64 v[4:5], v[4:5], 0, v[14:15]
	v_mul_hi_u32 v15, v7, v16
	v_mul_lo_u32 v16, v7, v16
	v_add_co_u32_e32 v4, vcc, v4, v16
	v_mul_hi_u32 v14, v7, v9
	s_nop 0
	v_addc_co_u32_e32 v4, vcc, v5, v15, vcc
	v_mov_b32_e32 v5, v6
	s_nop 0
	v_addc_co_u32_e32 v15, vcc, 0, v14, vcc
	v_mul_lo_u32 v14, v7, v9
	v_lshl_add_u64 v[4:5], v[4:5], 0, v[14:15]
	v_add_co_u32_e32 v1, vcc, v1, v4
	v_mul_lo_u32 v14, s2, v1
	s_nop 0
	v_addc_co_u32_e32 v7, vcc, v7, v5, vcc
	v_mul_lo_u32 v4, s2, v7
	v_mul_hi_u32 v5, s2, v1
	v_add_u32_e32 v4, v5, v4
	v_mul_lo_u32 v5, s3, v1
	v_add_u32_e32 v9, v4, v5
	v_mul_hi_u32 v17, v7, v14
	v_mul_lo_u32 v18, v7, v14
	v_mul_hi_u32 v5, v1, v9
	v_mul_lo_u32 v4, v1, v9
	v_mul_hi_u32 v14, v1, v14
	v_mov_b32_e32 v15, v6
	v_lshl_add_u64 v[4:5], v[14:15], 0, v[4:5]
	v_add_co_u32_e32 v4, vcc, v4, v18
	v_mul_hi_u32 v16, v7, v9
	s_nop 0
	v_addc_co_u32_e32 v4, vcc, v5, v17, vcc
	v_mul_lo_u32 v14, v7, v9
	s_nop 0
	v_addc_co_u32_e32 v15, vcc, 0, v16, vcc
	v_mov_b32_e32 v5, v6
	v_lshl_add_u64 v[4:5], v[4:5], 0, v[14:15]
	v_add_co_u32_e32 v1, vcc, v1, v4
	v_mul_hi_u32 v14, v12, v1
	s_nop 0
	v_addc_co_u32_e32 v7, vcc, v7, v5, vcc
	v_mad_u64_u32 v[4:5], s[2:3], v12, v7, 0
	v_mov_b32_e32 v15, v6
	v_lshl_add_u64 v[4:5], v[14:15], 0, v[4:5]
	v_mad_u64_u32 v[16:17], s[2:3], v13, v1, 0
	v_add_co_u32_e32 v1, vcc, v4, v16
	v_mad_u64_u32 v[14:15], s[2:3], v13, v7, 0
	s_nop 0
	v_addc_co_u32_e32 v4, vcc, v5, v17, vcc
	v_mov_b32_e32 v5, v6
	s_nop 0
	v_addc_co_u32_e32 v15, vcc, 0, v15, vcc
	v_lshl_add_u64 v[4:5], v[4:5], 0, v[14:15]
	v_mul_lo_u32 v1, s25, v4
	v_mul_lo_u32 v7, s24, v5
	v_mad_u64_u32 v[14:15], s[2:3], s24, v4, 0
	v_add3_u32 v1, v15, v7, v1
	v_sub_u32_e32 v7, v13, v1
	v_mov_b32_e32 v9, s25
	v_sub_co_u32_e32 v18, vcc, v12, v14
	v_lshl_add_u64 v[16:17], v[4:5], 0, 1
	s_nop 0
	v_subb_co_u32_e64 v7, s[2:3], v7, v9, vcc
	v_subrev_co_u32_e64 v9, s[2:3], s24, v18
	v_subb_co_u32_e32 v1, vcc, v13, v1, vcc
	s_nop 0
	v_subbrev_co_u32_e64 v7, s[2:3], 0, v7, s[2:3]
	v_cmp_le_u32_e64 s[2:3], s25, v7
	v_cmp_le_u32_e32 vcc, s25, v1
	s_nop 0
	v_cndmask_b32_e64 v14, 0, -1, s[2:3]
	v_cmp_le_u32_e64 s[2:3], s24, v9
	s_nop 1
	v_cndmask_b32_e64 v9, 0, -1, s[2:3]
	v_cmp_eq_u32_e64 s[2:3], s25, v7
	s_nop 1
	v_cndmask_b32_e64 v7, v14, v9, s[2:3]
	v_lshl_add_u64 v[14:15], v[4:5], 0, 2
	v_cmp_ne_u32_e64 s[2:3], 0, v7
	v_cndmask_b32_e64 v9, 0, -1, vcc
	v_cmp_le_u32_e32 vcc, s24, v18
	v_cndmask_b32_e64 v7, v17, v15, s[2:3]
	s_nop 0
	v_cndmask_b32_e64 v15, 0, -1, vcc
	v_cmp_eq_u32_e32 vcc, s25, v1
	s_nop 1
	v_cndmask_b32_e32 v1, v9, v15, vcc
	v_cmp_ne_u32_e32 vcc, 0, v1
	v_cndmask_b32_e64 v1, v16, v14, s[2:3]
	s_nop 0
	v_cndmask_b32_e32 v5, v5, v7, vcc
	v_cndmask_b32_e32 v4, v4, v1, vcc
.LBB0_4:                                ;   in Loop: Header=BB0_2 Depth=1
	s_andn2_saveexec_b64 s[2:3], s[26:27]
	s_cbranch_execz .LBB0_6
; %bb.5:                                ;   in Loop: Header=BB0_2 Depth=1
	v_cvt_f32_u32_e32 v1, s24
	s_sub_i32 s26, 0, s24
	v_rcp_iflag_f32_e32 v1, v1
	s_nop 0
	v_mul_f32_e32 v1, 0x4f7ffffe, v1
	v_cvt_u32_f32_e32 v1, v1
	v_mul_lo_u32 v4, s26, v1
	v_mul_hi_u32 v4, v1, v4
	v_add_u32_e32 v1, v1, v4
	v_mul_hi_u32 v1, v12, v1
	v_mul_lo_u32 v4, v1, s24
	v_sub_u32_e32 v4, v12, v4
	v_add_u32_e32 v5, 1, v1
	v_subrev_u32_e32 v7, s24, v4
	v_cmp_le_u32_e32 vcc, s24, v4
	s_nop 1
	v_cndmask_b32_e32 v4, v4, v7, vcc
	v_cndmask_b32_e32 v1, v1, v5, vcc
	v_add_u32_e32 v5, 1, v1
	v_cmp_le_u32_e32 vcc, s24, v4
	s_nop 1
	v_cndmask_b32_e32 v4, v1, v5, vcc
	v_mov_b32_e32 v5, v6
.LBB0_6:                                ;   in Loop: Header=BB0_2 Depth=1
	s_or_b64 exec, exec, s[2:3]
	v_mad_u64_u32 v[14:15], s[2:3], v4, s24, 0
	s_load_dwordx2 s[2:3], s[18:19], 0x0
	s_add_u32 s22, s22, 1
	v_mul_lo_u32 v1, v5, s24
	v_mul_lo_u32 v7, v4, s25
	s_load_dwordx2 s[24:25], s[16:17], 0x0
	s_addc_u32 s23, s23, 0
	v_add3_u32 v1, v15, v7, v1
	v_sub_co_u32_e32 v7, vcc, v12, v14
	s_add_u32 s16, s16, 8
	s_nop 0
	v_subb_co_u32_e32 v1, vcc, v13, v1, vcc
	s_addc_u32 s17, s17, 0
	s_waitcnt lgkmcnt(0)
	v_mul_lo_u32 v9, s2, v1
	v_mul_lo_u32 v12, s3, v7
	v_mad_u64_u32 v[10:11], s[2:3], s2, v7, v[10:11]
	s_add_u32 s18, s18, 8
	v_add3_u32 v11, v12, v11, v9
	s_addc_u32 s19, s19, 0
	v_mov_b64_e32 v[12:13], s[10:11]
	v_mul_lo_u32 v1, s24, v1
	v_mul_lo_u32 v9, s25, v7
	v_mad_u64_u32 v[2:3], s[2:3], s24, v7, v[2:3]
	s_add_u32 s20, s20, 8
	v_cmp_ge_u64_e32 vcc, s[22:23], v[12:13]
	v_add3_u32 v3, v9, v3, v1
	s_addc_u32 s21, s21, 0
	s_cbranch_vccnz .LBB0_8
; %bb.7:                                ;   in Loop: Header=BB0_2 Depth=1
	v_mov_b64_e32 v[12:13], v[4:5]
	s_branch .LBB0_2
.LBB0_8:
	s_load_dwordx2 s[0:1], s[0:1], 0x28
	s_lshl_b64 s[16:17], s[10:11], 3
	s_add_u32 s2, s14, s16
	s_addc_u32 s3, s15, s17
	s_load_dwordx2 s[2:3], s[2:3], 0x0
	s_waitcnt lgkmcnt(0)
	v_cmp_gt_u64_e32 vcc, s[0:1], v[4:5]
	s_mov_b32 s0, 0x6186187
	v_mul_hi_u32 v1, v0, s0
	v_mul_u32_u24_e32 v1, 42, v1
	v_sub_u32_e32 v0, v0, v1
	v_mov_b32_e32 v6, 0
                                        ; implicit-def: $vgpr1
                                        ; implicit-def: $vgpr7
                                        ; implicit-def: $vgpr9
                                        ; implicit-def: $vgpr14
                                        ; implicit-def: $vgpr12
                                        ; implicit-def: $vgpr13
	s_and_saveexec_b64 s[10:11], vcc
	s_cbranch_execz .LBB0_12
; %bb.9:
	v_cmp_gt_u32_e64 s[0:1], 21, v0
                                        ; implicit-def: $vgpr13
                                        ; implicit-def: $vgpr12
                                        ; implicit-def: $vgpr14
                                        ; implicit-def: $vgpr9
                                        ; implicit-def: $vgpr7
                                        ; implicit-def: $vgpr1
	s_and_saveexec_b64 s[14:15], s[0:1]
	s_cbranch_execz .LBB0_11
; %bb.10:
	s_add_u32 s0, s12, s16
	s_addc_u32 s1, s13, s17
	s_load_dwordx2 s[0:1], s[0:1], 0x0
	v_mov_b32_e32 v1, 0
	s_waitcnt lgkmcnt(0)
	v_mul_lo_u32 v9, s1, v4
	v_mul_lo_u32 v12, s0, v5
	v_mad_u64_u32 v[6:7], s[0:1], s0, v4, 0
	v_add3_u32 v7, v7, v12, v9
	v_lshl_add_u64 v[6:7], v[6:7], 2, s[4:5]
	v_lshl_add_u64 v[6:7], v[10:11], 2, v[6:7]
	;; [unrolled: 1-line block ×3, first 2 shown]
	global_load_dword v1, v[10:11], off
	global_load_dword v12, v[10:11], off offset:84
	global_load_dword v7, v[10:11], off offset:168
	;; [unrolled: 1-line block ×5, first 2 shown]
.LBB0_11:
	s_or_b64 exec, exec, s[14:15]
	v_mov_b32_e32 v6, v0
.LBB0_12:
	s_or_b64 exec, exec, s[10:11]
	s_mov_b32 s0, 0xaaaaaaab
	v_mul_hi_u32 v10, v8, s0
	v_lshrrev_b32_e32 v10, 2, v10
	v_mul_lo_u32 v10, v10, 6
	v_sub_u32_e32 v8, v8, v10
	v_mul_u32_u24_e32 v16, 0x7e, v8
	s_waitcnt vmcnt(3)
	v_pk_add_f16 v8, v1, v7
	s_waitcnt vmcnt(0)
	v_add_f16_e32 v11, v14, v13
	v_pk_add_f16 v10, v12, v13
	v_fma_f16 v11, v11, -0.5, v12
	v_sub_f16_sdwa v15, v13, v14 dst_sel:DWORD dst_unused:UNUSED_PAD src0_sel:WORD_1 src1_sel:WORD_1
	s_mov_b32 s0, 0xbaee
	v_pk_add_f16 v18, v8, v9
	v_add_f16_sdwa v8, v14, v13 dst_sel:DWORD dst_unused:UNUSED_PAD src0_sel:WORD_1 src1_sel:WORD_1
	v_lshrrev_b32_e32 v12, 16, v12
	v_fma_f16 v17, v15, s0, v11
	s_movk_i32 s1, 0x3aee
	v_fma_f16 v8, v8, -0.5, v12
	v_sub_f16_e32 v12, v13, v14
	v_fma_f16 v11, v15, s1, v11
	v_fma_f16 v13, v12, s1, v8
	v_mul_f16_e32 v15, 0x3aee, v17
	v_fma_f16 v8, v12, s0, v8
	v_mul_f16_e32 v12, 0xbaee, v13
	v_fma_f16 v13, v13, 0.5, v15
	v_pk_add_f16 v15, v7, v9
	v_pk_add_f16 v7, v7, v9 neg_lo:[0,1] neg_hi:[0,1]
	v_pk_fma_f16 v1, v15, -0.5, v1 op_sel_hi:[1,0,1]
	v_pk_mul_f16 v7, v7, s1 op_sel_hi:[1,0]
	s_mov_b32 s1, 0xb800baee
	v_pk_add_f16 v10, v14, v10
	v_fma_f16 v12, v17, 0.5, v12
	v_pk_add_f16 v17, v1, v7 op_sel:[0,1] op_sel_hi:[1,0] neg_lo:[0,1] neg_hi:[0,1]
	s_mov_b32 s0, 0x3aeeb800
	v_pk_mul_f16 v8, v8, s1 op_sel_hi:[0,1]
	v_pk_add_f16 v14, v18, v10
	v_pk_add_f16 v1, v7, v1 op_sel:[1,0] op_sel_hi:[0,1]
	s_mov_b32 s10, 0xffff
	v_pk_fma_f16 v20, v11, s0, v8 op_sel_hi:[0,1,1]
	v_pk_add_f16 v8, v18, v10 neg_lo:[0,1] neg_hi:[0,1]
	v_alignbit_b32 v11, v17, v18, 16
	v_alignbit_b32 v10, v12, v10, 16
	v_bfi_b32 v19, s10, v1, v17
	v_pk_add_f16 v10, v11, v10 neg_lo:[0,1] neg_hi:[0,1]
	v_pack_b32_f16 v11, v13, v20
	v_add_f16_e32 v7, v17, v12
	v_add_f16_sdwa v15, v1, v13 dst_sel:DWORD dst_unused:UNUSED_PAD src0_sel:WORD_1 src1_sel:DWORD
	v_pk_add_f16 v9, v19, v20
	v_pk_add_f16 v11, v1, v11 op_sel:[1,0] op_sel_hi:[0,1] neg_lo:[0,1] neg_hi:[0,1]
	v_pk_add_f16 v12, v19, v20 neg_lo:[0,1] neg_hi:[0,1]
	v_cmp_gt_u32_e64 s[0:1], 21, v0
	v_lshlrev_b32_e32 v1, 2, v16
	s_and_saveexec_b64 s[4:5], s[0:1]
	s_cbranch_execz .LBB0_14
; %bb.13:
	v_mul_u32_u24_e32 v13, 6, v0
	v_lshlrev_b32_e32 v13, 2, v13
	s_mov_b32 s0, 0x5040100
	v_add3_u32 v13, 0, v13, v1
	v_perm_b32 v16, v15, v7, s0
	ds_write2_b32 v13, v14, v16 offset1:1
	ds_write_b32 v13, v9 offset:8
	ds_write_b16 v13, v8 offset:12
	ds_write_b64 v13, v[10:11] offset:14
	ds_write_b16_d16_hi v13, v12 offset:22
.LBB0_14:
	s_or_b64 exec, exec, s[4:5]
	v_cmp_gt_u32_e64 s[0:1], 18, v0
	v_bfi_b32 v12, s10, v7, v12
	v_lshlrev_b32_e32 v7, 2, v0
	s_waitcnt lgkmcnt(0)
	s_barrier
	s_waitcnt lgkmcnt(0)
                                        ; implicit-def: $vgpr13
	s_and_saveexec_b64 s[4:5], s[0:1]
	s_cbranch_execz .LBB0_16
; %bb.15:
	v_add3_u32 v10, 0, v7, v1
	ds_read2_b32 v[8:9], v10 offset0:18 offset1:36
	ds_read2_b32 v[16:17], v10 offset0:54 offset1:72
	;; [unrolled: 1-line block ×3, first 2 shown]
	v_add3_u32 v10, 0, v1, v7
	ds_read_b32 v14, v10
	s_waitcnt lgkmcnt(3)
	v_lshrrev_b32_e32 v15, 16, v8
	s_waitcnt lgkmcnt(2)
	v_alignbit_b32 v10, v17, v16, 16
	s_waitcnt lgkmcnt(1)
	v_alignbit_b32 v11, v12, v17, 16
	v_bfi_b32 v12, s10, v8, v12
	v_bfi_b32 v8, s10, v16, v13
.LBB0_16:
	s_or_b64 exec, exec, s[4:5]
	s_waitcnt lgkmcnt(0)
	s_barrier
	s_and_saveexec_b64 s[4:5], s[0:1]
	s_cbranch_execz .LBB0_18
; %bb.17:
	s_movk_i32 s0, 0xab
	v_mul_lo_u16_sdwa v16, v0, s0 dst_sel:DWORD dst_unused:UNUSED_PAD src0_sel:BYTE_0 src1_sel:DWORD
	v_lshrrev_b16_e32 v22, 10, v16
	v_mul_lo_u16_e32 v16, 6, v22
	v_sub_u16_e32 v23, v0, v16
	v_mov_b32_e32 v16, 6
	v_mul_u32_u24_sdwa v16, v23, v16 dst_sel:DWORD dst_unused:UNUSED_PAD src0_sel:BYTE_0 src1_sel:DWORD
	v_lshlrev_b32_e32 v24, 2, v16
	global_load_dwordx4 v[16:19], v24, s[8:9]
	global_load_dwordx2 v[20:21], v24, s[8:9] offset:16
	v_lshrrev_b32_e32 v24, 16, v8
	v_lshrrev_b32_e32 v25, 16, v10
	;; [unrolled: 1-line block ×5, first 2 shown]
	s_mov_b32 s0, 0xb574
	s_movk_i32 s10, 0x2b26
	s_mov_b32 s11, 0xbcab
	s_mov_b32 s12, 0xbb00
	s_movk_i32 s13, 0x3574
	s_mov_b32 s1, 0xb70e
	s_waitcnt vmcnt(1)
	v_mul_f16_sdwa v29, v15, v16 dst_sel:DWORD dst_unused:UNUSED_PAD src0_sel:DWORD src1_sel:WORD_1
	s_waitcnt vmcnt(0)
	v_mul_f16_sdwa v30, v24, v21 dst_sel:DWORD dst_unused:UNUSED_PAD src0_sel:DWORD src1_sel:WORD_1
	v_mul_f16_sdwa v31, v11, v19 dst_sel:DWORD dst_unused:UNUSED_PAD src0_sel:DWORD src1_sel:WORD_1
	;; [unrolled: 1-line block ×11, first 2 shown]
	v_fma_f16 v12, v12, v16, v29
	v_fma_f16 v13, v13, v21, v30
	;; [unrolled: 1-line block ×6, first 2 shown]
	v_fma_f16 v15, v15, v16, -v36
	v_fma_f16 v10, v10, v18, -v37
	;; [unrolled: 1-line block ×6, first 2 shown]
	v_sub_f16_e32 v18, v12, v13
	v_sub_f16_e32 v19, v25, v8
	;; [unrolled: 1-line block ×3, first 2 shown]
	v_add_f16_e32 v26, v10, v11
	v_add_f16_e32 v12, v12, v13
	;; [unrolled: 1-line block ×3, first 2 shown]
	v_sub_f16_e32 v10, v11, v10
	v_sub_f16_e32 v11, v17, v16
	v_add_f16_e32 v24, v15, v21
	v_add_f16_e32 v28, v17, v16
	;; [unrolled: 1-line block ×3, first 2 shown]
	v_sub_f16_e32 v13, v15, v21
	v_sub_f16_e32 v16, v19, v20
	v_add_f16_e32 v30, v9, v12
	v_sub_f16_e32 v32, v10, v11
	v_sub_f16_e32 v15, v18, v19
	v_add_f16_e32 v17, v19, v20
	v_sub_f16_e32 v19, v24, v26
	v_add_f16_e32 v25, v28, v24
	v_sub_f16_e32 v27, v12, v8
	v_sub_f16_e32 v29, v8, v9
	;; [unrolled: 1-line block ×3, first 2 shown]
	v_mul_f16_e32 v16, 0x3846, v16
	v_add_f16_e32 v8, v8, v30
	v_mul_f16_e32 v30, 0x3846, v32
	v_sub_f16_e32 v21, v26, v28
	v_add_f16_e32 v10, v10, v11
	v_sub_f16_e32 v20, v20, v18
	v_add_f16_e32 v17, v17, v18
	v_mul_f16_e32 v18, 0x3a52, v19
	v_add_f16_e32 v25, v26, v25
	v_mul_f16_e32 v26, 0x3a52, v27
	v_fma_f16 v33, v15, s0, v16
	v_fma_f16 v35, v31, s0, v30
	v_sub_f16_e32 v24, v28, v24
	s_mov_b32 s0, 0xb9e0
	v_sub_f16_e32 v9, v9, v12
	v_sub_f16_e32 v11, v11, v13
	v_mul_f16_e32 v19, 0x2b26, v21
	v_mul_f16_e32 v27, 0x2b26, v29
	v_add_f16_e32 v10, v10, v13
	v_mul_f16_e32 v32, 0xbb00, v20
	v_fma_f16 v21, v21, s10, v18
	v_add_f16_sdwa v34, v14, v25 dst_sel:DWORD dst_unused:UNUSED_PAD src0_sel:WORD_1 src1_sel:DWORD
	v_add_f16_e32 v14, v14, v8
	v_fma_f16 v18, v24, s0, -v18
	v_fma_f16 v12, v9, s0, -v26
	v_mul_f16_e32 v13, 0xbb00, v11
	s_movk_i32 s0, 0x39e0
	v_fma_f16 v29, v29, s10, v26
	v_fma_f16 v15, v15, s13, -v32
	v_fma_f16 v25, v25, s11, v34
	v_fma_f16 v8, v8, s11, v14
	v_fma_f16 v13, v31, s13, -v13
	v_fma_f16 v11, v11, s12, -v30
	;; [unrolled: 1-line block ×3, first 2 shown]
	v_fma_f16 v32, v17, s1, v33
	v_fma_f16 v33, v10, s1, v35
	v_add_f16_e32 v29, v29, v8
	v_fma_f16 v15, v17, s1, v15
	v_add_f16_e32 v18, v18, v25
	v_add_f16_e32 v12, v12, v8
	v_fma_f16 v13, v10, s1, v13
	v_fma_f16 v19, v24, s0, -v19
	v_fma_f16 v16, v20, s12, -v16
	v_fma_f16 v10, v10, s1, v11
	v_add_f16_e32 v8, v9, v8
	v_add_f16_e32 v28, v15, v18
	;; [unrolled: 1-line block ×3, first 2 shown]
	v_fma_f16 v16, v17, s1, v16
	v_add_f16_e32 v9, v10, v8
	v_sub_f16_e32 v8, v8, v10
	v_sub_f16_e32 v10, v18, v15
	s_movk_i32 s0, 0xa8
	v_mov_b32_e32 v18, 2
	v_sub_f16_e32 v26, v12, v13
	v_sub_f16_e32 v17, v19, v16
	v_add_f16_e32 v11, v16, v19
	v_add_f16_e32 v12, v13, v12
	v_mad_u32_u24 v16, v22, s0, 0
	v_lshlrev_b32_sdwa v18, v18, v23 dst_sel:DWORD dst_unused:UNUSED_PAD src0_sel:DWORD src1_sel:BYTE_0
	v_add_f16_e32 v21, v21, v25
	v_add3_u32 v16, v16, v18, v1
	v_pack_b32_f16 v10, v12, v10
	v_pack_b32_f16 v8, v8, v11
	v_add_f16_e32 v35, v32, v21
	v_sub_f16_e32 v36, v29, v33
	v_sub_f16_e32 v13, v21, v32
	v_add_f16_e32 v15, v33, v29
	ds_write2_b32 v16, v10, v8 offset0:12 offset1:18
	v_pack_b32_f16 v8, v9, v17
	v_pack_b32_f16 v9, v26, v28
	;; [unrolled: 1-line block ×4, first 2 shown]
	ds_write2_b32 v16, v8, v9 offset0:24 offset1:30
	v_pack_b32_f16 v8, v36, v35
	ds_write2_b32 v16, v14, v13 offset1:6
	ds_write_b32 v16, v8 offset:144
.LBB0_18:
	s_or_b64 exec, exec, s[4:5]
	s_waitcnt lgkmcnt(0)
	s_barrier
	s_and_saveexec_b64 s[0:1], vcc
	s_cbranch_execz .LBB0_20
; %bb.19:
	v_lshlrev_b32_e32 v8, 1, v0
	v_mov_b32_e32 v9, 0
	v_lshl_add_u64 v[10:11], v[8:9], 2, s[8:9]
	global_load_dwordx2 v[10:11], v[10:11], off offset:144
	v_mul_lo_u32 v0, s3, v4
	v_mul_lo_u32 v8, s2, v5
	v_mad_u64_u32 v[4:5], s[0:1], s2, v4, 0
	v_add3_u32 v12, 0, v1, v7
	v_add3_u32 v1, 0, v7, v1
	v_add3_u32 v5, v5, v8, v0
	ds_read_b32 v8, v12
	ds_read2_b32 v[0:1], v1 offset0:42 offset1:84
	v_lshl_add_u64 v[4:5], v[4:5], 2, s[6:7]
	v_mov_b32_e32 v7, v9
	v_lshl_add_u64 v[2:3], v[2:3], 2, v[4:5]
	v_lshl_add_u64 v[2:3], v[6:7], 2, v[2:3]
	s_waitcnt lgkmcnt(0)
	v_lshrrev_b32_e32 v5, 16, v0
	v_lshrrev_b32_e32 v6, 16, v1
	;; [unrolled: 1-line block ×3, first 2 shown]
	s_mov_b32 s0, 0xbaee
	s_movk_i32 s1, 0x3aee
	s_waitcnt vmcnt(0)
	v_mul_f16_sdwa v7, v10, v0 dst_sel:DWORD dst_unused:UNUSED_PAD src0_sel:WORD_1 src1_sel:DWORD
	v_mul_f16_sdwa v9, v11, v1 dst_sel:DWORD dst_unused:UNUSED_PAD src0_sel:WORD_1 src1_sel:DWORD
	;; [unrolled: 1-line block ×4, first 2 shown]
	v_fma_f16 v5, v10, v5, -v7
	v_fma_f16 v6, v11, v6, -v9
	v_fma_f16 v0, v10, v0, v12
	v_fma_f16 v1, v11, v1, v13
	v_add_f16_e32 v7, v5, v6
	v_sub_f16_e32 v9, v0, v1
	v_add_f16_e32 v10, v0, v1
	v_sub_f16_e32 v11, v5, v6
	v_add_f16_e32 v5, v5, v4
	v_add_f16_e32 v0, v0, v8
	v_fma_f16 v4, v7, -0.5, v4
	v_fma_f16 v7, v10, -0.5, v8
	v_add_f16_e32 v5, v5, v6
	v_add_f16_e32 v0, v0, v1
	v_fma_f16 v1, v9, s0, v4
	v_fma_f16 v6, v11, s1, v7
	;; [unrolled: 1-line block ×4, first 2 shown]
	v_pack_b32_f16 v0, v0, v5
	global_store_dword v[2:3], v0, off
	v_pack_b32_f16 v0, v7, v4
	v_pack_b32_f16 v1, v6, v1
	global_store_dword v[2:3], v0, off offset:168
	global_store_dword v[2:3], v1, off offset:336
.LBB0_20:
	s_endpgm
	.section	.rodata,"a",@progbits
	.p2align	6, 0x0
	.amdhsa_kernel fft_rtc_back_len126_factors_6_7_3_wgs_252_tpt_42_half_op_CI_CI_unitstride_sbrr_dirReg
		.amdhsa_group_segment_fixed_size 0
		.amdhsa_private_segment_fixed_size 0
		.amdhsa_kernarg_size 104
		.amdhsa_user_sgpr_count 2
		.amdhsa_user_sgpr_dispatch_ptr 0
		.amdhsa_user_sgpr_queue_ptr 0
		.amdhsa_user_sgpr_kernarg_segment_ptr 1
		.amdhsa_user_sgpr_dispatch_id 0
		.amdhsa_user_sgpr_kernarg_preload_length 0
		.amdhsa_user_sgpr_kernarg_preload_offset 0
		.amdhsa_user_sgpr_private_segment_size 0
		.amdhsa_uses_dynamic_stack 0
		.amdhsa_enable_private_segment 0
		.amdhsa_system_sgpr_workgroup_id_x 1
		.amdhsa_system_sgpr_workgroup_id_y 0
		.amdhsa_system_sgpr_workgroup_id_z 0
		.amdhsa_system_sgpr_workgroup_info 0
		.amdhsa_system_vgpr_workitem_id 0
		.amdhsa_next_free_vgpr 41
		.amdhsa_next_free_sgpr 28
		.amdhsa_accum_offset 44
		.amdhsa_reserve_vcc 1
		.amdhsa_float_round_mode_32 0
		.amdhsa_float_round_mode_16_64 0
		.amdhsa_float_denorm_mode_32 3
		.amdhsa_float_denorm_mode_16_64 3
		.amdhsa_dx10_clamp 1
		.amdhsa_ieee_mode 1
		.amdhsa_fp16_overflow 0
		.amdhsa_tg_split 0
		.amdhsa_exception_fp_ieee_invalid_op 0
		.amdhsa_exception_fp_denorm_src 0
		.amdhsa_exception_fp_ieee_div_zero 0
		.amdhsa_exception_fp_ieee_overflow 0
		.amdhsa_exception_fp_ieee_underflow 0
		.amdhsa_exception_fp_ieee_inexact 0
		.amdhsa_exception_int_div_zero 0
	.end_amdhsa_kernel
	.text
.Lfunc_end0:
	.size	fft_rtc_back_len126_factors_6_7_3_wgs_252_tpt_42_half_op_CI_CI_unitstride_sbrr_dirReg, .Lfunc_end0-fft_rtc_back_len126_factors_6_7_3_wgs_252_tpt_42_half_op_CI_CI_unitstride_sbrr_dirReg
                                        ; -- End function
	.section	.AMDGPU.csdata,"",@progbits
; Kernel info:
; codeLenInByte = 3264
; NumSgprs: 34
; NumVgprs: 41
; NumAgprs: 0
; TotalNumVgprs: 41
; ScratchSize: 0
; MemoryBound: 0
; FloatMode: 240
; IeeeMode: 1
; LDSByteSize: 0 bytes/workgroup (compile time only)
; SGPRBlocks: 4
; VGPRBlocks: 5
; NumSGPRsForWavesPerEU: 34
; NumVGPRsForWavesPerEU: 41
; AccumOffset: 44
; Occupancy: 8
; WaveLimiterHint : 1
; COMPUTE_PGM_RSRC2:SCRATCH_EN: 0
; COMPUTE_PGM_RSRC2:USER_SGPR: 2
; COMPUTE_PGM_RSRC2:TRAP_HANDLER: 0
; COMPUTE_PGM_RSRC2:TGID_X_EN: 1
; COMPUTE_PGM_RSRC2:TGID_Y_EN: 0
; COMPUTE_PGM_RSRC2:TGID_Z_EN: 0
; COMPUTE_PGM_RSRC2:TIDIG_COMP_CNT: 0
; COMPUTE_PGM_RSRC3_GFX90A:ACCUM_OFFSET: 10
; COMPUTE_PGM_RSRC3_GFX90A:TG_SPLIT: 0
	.text
	.p2alignl 6, 3212836864
	.fill 256, 4, 3212836864
	.type	__hip_cuid_75ac4a6732bf49,@object ; @__hip_cuid_75ac4a6732bf49
	.section	.bss,"aw",@nobits
	.globl	__hip_cuid_75ac4a6732bf49
__hip_cuid_75ac4a6732bf49:
	.byte	0                               ; 0x0
	.size	__hip_cuid_75ac4a6732bf49, 1

	.ident	"AMD clang version 19.0.0git (https://github.com/RadeonOpenCompute/llvm-project roc-6.4.0 25133 c7fe45cf4b819c5991fe208aaa96edf142730f1d)"
	.section	".note.GNU-stack","",@progbits
	.addrsig
	.addrsig_sym __hip_cuid_75ac4a6732bf49
	.amdgpu_metadata
---
amdhsa.kernels:
  - .agpr_count:     0
    .args:
      - .actual_access:  read_only
        .address_space:  global
        .offset:         0
        .size:           8
        .value_kind:     global_buffer
      - .offset:         8
        .size:           8
        .value_kind:     by_value
      - .actual_access:  read_only
        .address_space:  global
        .offset:         16
        .size:           8
        .value_kind:     global_buffer
      - .actual_access:  read_only
        .address_space:  global
        .offset:         24
        .size:           8
        .value_kind:     global_buffer
      - .actual_access:  read_only
        .address_space:  global
        .offset:         32
        .size:           8
        .value_kind:     global_buffer
      - .offset:         40
        .size:           8
        .value_kind:     by_value
      - .actual_access:  read_only
        .address_space:  global
        .offset:         48
        .size:           8
        .value_kind:     global_buffer
      - .actual_access:  read_only
        .address_space:  global
        .offset:         56
        .size:           8
        .value_kind:     global_buffer
      - .offset:         64
        .size:           4
        .value_kind:     by_value
      - .actual_access:  read_only
        .address_space:  global
        .offset:         72
        .size:           8
        .value_kind:     global_buffer
      - .actual_access:  read_only
        .address_space:  global
        .offset:         80
        .size:           8
        .value_kind:     global_buffer
      - .actual_access:  read_only
        .address_space:  global
        .offset:         88
        .size:           8
        .value_kind:     global_buffer
      - .actual_access:  write_only
        .address_space:  global
        .offset:         96
        .size:           8
        .value_kind:     global_buffer
    .group_segment_fixed_size: 0
    .kernarg_segment_align: 8
    .kernarg_segment_size: 104
    .language:       OpenCL C
    .language_version:
      - 2
      - 0
    .max_flat_workgroup_size: 252
    .name:           fft_rtc_back_len126_factors_6_7_3_wgs_252_tpt_42_half_op_CI_CI_unitstride_sbrr_dirReg
    .private_segment_fixed_size: 0
    .sgpr_count:     34
    .sgpr_spill_count: 0
    .symbol:         fft_rtc_back_len126_factors_6_7_3_wgs_252_tpt_42_half_op_CI_CI_unitstride_sbrr_dirReg.kd
    .uniform_work_group_size: 1
    .uses_dynamic_stack: false
    .vgpr_count:     41
    .vgpr_spill_count: 0
    .wavefront_size: 64
amdhsa.target:   amdgcn-amd-amdhsa--gfx950
amdhsa.version:
  - 1
  - 2
...

	.end_amdgpu_metadata
